;; amdgpu-corpus repo=ROCm/rocFFT kind=compiled arch=gfx906 opt=O3
	.text
	.amdgcn_target "amdgcn-amd-amdhsa--gfx906"
	.amdhsa_code_object_version 6
	.protected	bluestein_single_back_len2048_dim1_sp_op_CI_CI ; -- Begin function bluestein_single_back_len2048_dim1_sp_op_CI_CI
	.globl	bluestein_single_back_len2048_dim1_sp_op_CI_CI
	.p2align	8
	.type	bluestein_single_back_len2048_dim1_sp_op_CI_CI,@function
bluestein_single_back_len2048_dim1_sp_op_CI_CI: ; @bluestein_single_back_len2048_dim1_sp_op_CI_CI
; %bb.0:
	s_load_dwordx4 s[0:3], s[4:5], 0x28
	s_mov_b32 s7, 0
	s_waitcnt lgkmcnt(0)
	v_mov_b32_e32 v1, s0
	v_mov_b32_e32 v2, s1
	v_cmp_lt_u64_e32 vcc, s[6:7], v[1:2]
	s_and_saveexec_b64 s[0:1], vcc
	s_cbranch_execz .LBB0_23
; %bb.1:
	s_load_dwordx2 s[12:13], s[4:5], 0x0
	s_load_dwordx2 s[14:15], s[4:5], 0x38
	v_mov_b32_e32 v74, s7
	s_movk_i32 s0, 0x80
	v_mov_b32_e32 v73, s6
	v_cmp_gt_u32_e32 vcc, s0, v0
	v_lshlrev_b32_e32 v78, 3, v0
	s_and_saveexec_b64 s[6:7], vcc
	s_cbranch_execz .LBB0_3
; %bb.2:
	s_load_dwordx2 s[0:1], s[4:5], 0x18
	v_or_b32_e32 v10, 0x80, v0
	v_mov_b32_e32 v9, s3
	v_or_b32_e32 v27, 0x280, v0
	v_or_b32_e32 v13, 0x1000, v78
	s_waitcnt lgkmcnt(0)
	s_load_dwordx4 s[8:11], s[0:1], 0x0
	v_or_b32_e32 v61, 0x780, v0
	v_lshlrev_b32_e32 v26, 3, v27
	v_lshlrev_b32_e32 v28, 3, v61
	v_or_b32_e32 v25, 0x180, v0
	s_waitcnt lgkmcnt(0)
	v_mad_u64_u32 v[1:2], s[0:1], s10, v73, 0
	v_mad_u64_u32 v[3:4], s[0:1], s8, v0, 0
	v_or_b32_e32 v37, 0x380, v0
	v_or_b32_e32 v41, 0x2000, v78
	v_mad_u64_u32 v[5:6], s[0:1], s11, v73, v[2:3]
	v_or_b32_e32 v49, 0x2800, v78
	v_or_b32_e32 v57, 0x3000, v78
	v_mad_u64_u32 v[6:7], s[0:1], s9, v0, v[4:5]
	v_mad_u64_u32 v[7:8], s[0:1], s8, v10, 0
	v_mov_b32_e32 v2, v5
	v_lshlrev_b64 v[1:2], 3, v[1:2]
	v_mov_b32_e32 v4, v6
	v_add_co_u32_e64 v65, s[0:1], s2, v1
	v_addc_co_u32_e64 v66, s[0:1], v9, v2, s[0:1]
	v_lshlrev_b64 v[1:2], 3, v[3:4]
	v_mov_b32_e32 v3, v8
	v_mad_u64_u32 v[3:4], s[0:1], s9, v10, v[3:4]
	v_add_co_u32_e64 v1, s[0:1], v65, v1
	v_mov_b32_e32 v8, v3
	v_lshlrev_b64 v[3:4], 3, v[7:8]
	global_load_dwordx2 v[7:8], v78, s[12:13] offset:1024
	global_load_dwordx2 v[9:10], v78, s[12:13] offset:2048
	;; [unrolled: 1-line block ×3, first 2 shown]
	v_addc_co_u32_e64 v2, s[0:1], v66, v2, s[0:1]
	global_load_dwordx2 v[13:14], v13, s[12:13]
	s_nop 0
	global_load_dwordx2 v[19:20], v26, s[12:13]
	global_load_dwordx2 v[21:22], v78, s[12:13]
	global_load_dwordx2 v[23:24], v28, s[12:13]
	v_add_co_u32_e64 v3, s[0:1], v65, v3
	v_addc_co_u32_e64 v4, s[0:1], v66, v4, s[0:1]
	s_lshl_b64 s[2:3], s[8:9], 11
	v_mov_b32_e32 v59, s3
	v_add_co_u32_e64 v5, s[0:1], s2, v1
	v_addc_co_u32_e64 v6, s[0:1], v2, v59, s[0:1]
	v_mad_u64_u32 v[15:16], s[0:1], s8, v25, 0
	v_mad_u64_u32 v[17:18], s[0:1], s8, v27, 0
	v_or_b32_e32 v43, 0x480, v0
	v_or_b32_e32 v51, 0x580, v0
	v_mad_u64_u32 v[25:26], s[0:1], s9, v25, v[16:17]
	v_or_b32_e32 v62, 0x680, v0
	v_lshlrev_b32_e32 v67, 3, v62
	v_mov_b32_e32 v16, v25
	v_lshlrev_b64 v[15:16], 3, v[15:16]
	s_waitcnt vmcnt(2)
	v_mad_u64_u32 v[26:27], s[0:1], s9, v27, v[18:19]
	v_mad_u64_u32 v[27:28], s[0:1], s8, v37, 0
	v_mov_b32_e32 v18, v26
	v_lshlrev_b64 v[17:18], 3, v[17:18]
	v_add_co_u32_e64 v15, s[0:1], v65, v15
	v_addc_co_u32_e64 v16, s[0:1], v66, v16, s[0:1]
	v_add_co_u32_e64 v17, s[0:1], v65, v17
	v_addc_co_u32_e64 v18, s[0:1], v66, v18, s[0:1]
	global_load_dwordx2 v[25:26], v[17:18], off
	global_load_dwordx2 v[29:30], v[1:2], off
	;; [unrolled: 1-line block ×5, first 2 shown]
	v_add_co_u32_e64 v1, s[0:1], s2, v5
	v_addc_co_u32_e64 v2, s[0:1], v6, v59, s[0:1]
	global_load_dwordx2 v[3:4], v[1:2], off
	v_add_co_u32_e64 v1, s[0:1], s2, v1
	v_mov_b32_e32 v5, v28
	v_addc_co_u32_e64 v2, s[0:1], v2, v59, s[0:1]
	v_mad_u64_u32 v[5:6], s[0:1], s9, v37, v[5:6]
	v_or_b32_e32 v6, 0x1800, v78
	global_load_dwordx2 v[17:18], v6, s[12:13]
	v_mov_b32_e32 v28, v5
	global_load_dwordx2 v[41:42], v41, s[12:13]
	s_nop 0
	global_load_dwordx2 v[49:50], v49, s[12:13]
	s_nop 0
	global_load_dwordx2 v[57:58], v57, s[12:13]
	v_lshlrev_b64 v[5:6], 3, v[27:28]
	v_lshlrev_b32_e32 v27, 3, v37
	v_add_co_u32_e64 v5, s[0:1], v65, v5
	v_addc_co_u32_e64 v6, s[0:1], v66, v6, s[0:1]
	v_mad_u64_u32 v[37:38], s[0:1], s8, v43, 0
	global_load_dwordx2 v[15:16], v[1:2], off
	s_nop 0
	global_load_dwordx2 v[5:6], v[5:6], off
	v_add_co_u32_e64 v1, s[0:1], s2, v1
	v_addc_co_u32_e64 v2, s[0:1], v2, v59, s[0:1]
	v_mad_u64_u32 v[38:39], s[0:1], s9, v43, v[38:39]
	global_load_dwordx2 v[39:40], v[1:2], off
	v_lshlrev_b32_e32 v43, 3, v43
	v_lshlrev_b64 v[37:38], 3, v[37:38]
	global_load_dwordx2 v[27:28], v27, s[12:13]
	v_add_co_u32_e64 v37, s[0:1], v65, v37
	global_load_dwordx2 v[43:44], v43, s[12:13]
	v_addc_co_u32_e64 v38, s[0:1], v66, v38, s[0:1]
	v_mad_u64_u32 v[45:46], s[0:1], s8, v51, 0
	global_load_dwordx2 v[37:38], v[37:38], off
	v_add_co_u32_e64 v1, s[0:1], s2, v1
	v_addc_co_u32_e64 v2, s[0:1], v2, v59, s[0:1]
	v_mad_u64_u32 v[46:47], s[0:1], s9, v51, v[46:47]
	global_load_dwordx2 v[47:48], v[1:2], off
	v_lshlrev_b32_e32 v51, 3, v51
	global_load_dwordx2 v[51:52], v51, s[12:13]
	v_lshlrev_b64 v[45:46], 3, v[45:46]
	v_add_co_u32_e64 v45, s[0:1], v65, v45
	v_addc_co_u32_e64 v46, s[0:1], v66, v46, s[0:1]
	v_mad_u64_u32 v[53:54], s[0:1], s8, v62, 0
	v_add_co_u32_e64 v1, s[0:1], s2, v1
	v_addc_co_u32_e64 v2, s[0:1], v2, v59, s[0:1]
	v_mad_u64_u32 v[54:55], s[0:1], s9, v62, v[54:55]
	global_load_dwordx2 v[55:56], v[1:2], off
	v_add_co_u32_e64 v1, s[0:1], s2, v1
	v_addc_co_u32_e64 v2, s[0:1], v2, v59, s[0:1]
	v_mad_u64_u32 v[59:60], s[0:1], s8, v61, 0
	v_lshlrev_b64 v[53:54], 3, v[53:54]
	global_load_dwordx2 v[45:46], v[45:46], off
	v_add_co_u32_e64 v53, s[0:1], v65, v53
	v_addc_co_u32_e64 v54, s[0:1], v66, v54, s[0:1]
	global_load_dwordx2 v[53:54], v[53:54], off
	v_mad_u64_u32 v[60:61], s[0:1], s9, v61, v[60:61]
	global_load_dwordx2 v[61:62], v67, s[12:13]
	global_load_dwordx2 v[63:64], v[1:2], off
	v_or_b32_e32 v67, 0x3800, v78
	v_lshlrev_b64 v[1:2], 3, v[59:60]
	global_load_dwordx2 v[59:60], v67, s[12:13]
	v_add_co_u32_e64 v1, s[0:1], v65, v1
	v_addc_co_u32_e64 v2, s[0:1], v66, v2, s[0:1]
	global_load_dwordx2 v[1:2], v[1:2], off
	s_waitcnt vmcnt(22)
	v_mul_f32_e32 v67, v32, v8
	v_mul_f32_e32 v8, v31, v8
	v_fmac_f32_e32 v67, v31, v7
	v_fma_f32 v68, v32, v7, -v8
	s_waitcnt vmcnt(21)
	v_mul_f32_e32 v7, v34, v10
	v_mul_f32_e32 v8, v33, v10
	v_fmac_f32_e32 v7, v33, v9
	v_fma_f32 v8, v34, v9, -v8
	s_waitcnt vmcnt(20)
	v_mul_f32_e32 v9, v35, v12
	v_fma_f32 v10, v36, v11, -v9
	v_mul_f32_e32 v9, v36, v12
	v_fmac_f32_e32 v9, v35, v11
	ds_write2st64_b64 v78, v[7:8], v[9:10] offset0:4 offset1:6
	s_waitcnt vmcnt(19)
	v_mul_f32_e32 v7, v4, v14
	v_fmac_f32_e32 v7, v3, v13
	v_mul_f32_e32 v3, v3, v14
	v_fma_f32 v8, v4, v13, -v3
	v_mul_f32_e32 v3, v26, v20
	v_mul_f32_e32 v4, v25, v20
	v_fmac_f32_e32 v3, v25, v19
	v_fma_f32 v4, v26, v19, -v4
	ds_write2st64_b64 v78, v[7:8], v[3:4] offset0:8 offset1:10
	s_waitcnt vmcnt(14)
	v_mul_f32_e32 v3, v16, v18
	s_waitcnt vmcnt(11)
	v_mul_f32_e32 v7, v6, v28
	v_mul_f32_e32 v4, v15, v18
	v_fmac_f32_e32 v7, v5, v27
	v_mul_f32_e32 v5, v5, v28
	v_fmac_f32_e32 v3, v15, v17
	v_fma_f32 v4, v16, v17, -v4
	v_fma_f32 v8, v6, v27, -v5
	ds_write2st64_b64 v78, v[3:4], v[7:8] offset0:12 offset1:14
	v_mul_f32_e32 v3, v40, v42
	v_mul_f32_e32 v4, v39, v42
	s_waitcnt vmcnt(9)
	v_mul_f32_e32 v5, v38, v44
	v_mul_f32_e32 v6, v37, v44
	v_fmac_f32_e32 v3, v39, v41
	v_fma_f32 v4, v40, v41, -v4
	v_fmac_f32_e32 v5, v37, v43
	v_fma_f32 v6, v38, v43, -v6
	ds_write2st64_b64 v78, v[3:4], v[5:6] offset0:16 offset1:18
	s_waitcnt vmcnt(8)
	v_mul_f32_e32 v3, v48, v50
	v_mul_f32_e32 v4, v47, v50
	v_fmac_f32_e32 v3, v47, v49
	v_fma_f32 v4, v48, v49, -v4
	v_mul_f32_e32 v65, v30, v22
	v_mul_f32_e32 v22, v29, v22
	v_fmac_f32_e32 v65, v29, v21
	v_fma_f32 v66, v30, v21, -v22
	ds_write2st64_b64 v78, v[65:66], v[67:68] offset1:2
	s_waitcnt vmcnt(5)
	v_mul_f32_e32 v5, v46, v52
	v_mul_f32_e32 v6, v45, v52
	v_fmac_f32_e32 v5, v45, v51
	v_fma_f32 v6, v46, v51, -v6
	ds_write2st64_b64 v78, v[3:4], v[5:6] offset0:20 offset1:22
	v_mul_f32_e32 v3, v56, v58
	v_mul_f32_e32 v4, v55, v58
	s_waitcnt vmcnt(3)
	v_mul_f32_e32 v5, v54, v62
	v_mul_f32_e32 v6, v53, v62
	v_fmac_f32_e32 v3, v55, v57
	v_fma_f32 v4, v56, v57, -v4
	v_fmac_f32_e32 v5, v53, v61
	v_fma_f32 v6, v54, v61, -v6
	ds_write2st64_b64 v78, v[3:4], v[5:6] offset0:24 offset1:26
	s_waitcnt vmcnt(1)
	v_mul_f32_e32 v3, v64, v60
	v_mul_f32_e32 v4, v63, v60
	s_waitcnt vmcnt(0)
	v_mul_f32_e32 v5, v2, v24
	v_fmac_f32_e32 v5, v1, v23
	v_mul_f32_e32 v1, v1, v24
	v_fmac_f32_e32 v3, v63, v59
	v_fma_f32 v4, v64, v59, -v4
	v_fma_f32 v6, v2, v23, -v1
	ds_write2st64_b64 v78, v[3:4], v[5:6] offset0:28 offset1:30
.LBB0_3:
	s_or_b64 exec, exec, s[6:7]
	s_waitcnt lgkmcnt(0)
	s_barrier
	s_waitcnt lgkmcnt(0)
                                        ; implicit-def: $vgpr29
                                        ; implicit-def: $vgpr7
                                        ; implicit-def: $vgpr27
                                        ; implicit-def: $vgpr19
                                        ; implicit-def: $vgpr23
                                        ; implicit-def: $vgpr31
                                        ; implicit-def: $vgpr15
                                        ; implicit-def: $vgpr3
                                        ; implicit-def: $vgpr11
	s_and_saveexec_b64 s[0:1], vcc
	s_cbranch_execz .LBB0_5
; %bb.4:
	ds_read2st64_b64 v[9:12], v78 offset1:2
	ds_read2st64_b64 v[1:4], v78 offset0:4 offset1:6
	ds_read2st64_b64 v[13:16], v78 offset0:8 offset1:10
	;; [unrolled: 1-line block ×3, first 2 shown]
	v_or_b32_e32 v29, 0x1c00, v78
	ds_read2st64_b64 v[21:24], v78 offset0:16 offset1:18
	ds_read2st64_b64 v[17:20], v78 offset0:20 offset1:22
	;; [unrolled: 1-line block ×3, first 2 shown]
	v_or_b32_e32 v30, 0x3c00, v78
	ds_read_b64 v[31:32], v29
	ds_read_b64 v[29:30], v30
.LBB0_5:
	s_or_b64 exec, exec, s[0:1]
	s_waitcnt lgkmcnt(4)
	v_sub_f32_e32 v21, v9, v21
	v_sub_f32_e32 v22, v10, v22
	s_waitcnt lgkmcnt(2)
	v_sub_f32_e32 v25, v13, v25
	v_sub_f32_e32 v26, v14, v26
	v_fma_f32 v13, v13, 2.0, -v25
	v_fma_f32 v14, v14, 2.0, -v26
	v_sub_f32_e32 v17, v1, v17
	v_sub_f32_e32 v18, v2, v18
	;; [unrolled: 1-line block ×5, first 2 shown]
	v_add_f32_e32 v25, v25, v22
	v_fma_f32 v9, v9, 2.0, -v21
	v_fma_f32 v10, v10, 2.0, -v22
	v_fma_f32 v5, v5, 2.0, -v7
	v_fma_f32 v6, v6, 2.0, -v8
	v_fma_f32 v21, v21, 2.0, -v26
	v_fma_f32 v22, v22, 2.0, -v25
	v_sub_f32_e32 v8, v17, v8
	v_add_f32_e32 v7, v7, v18
	v_fma_f32 v1, v1, 2.0, -v17
	v_fma_f32 v2, v2, 2.0, -v18
	;; [unrolled: 1-line block ×4, first 2 shown]
	v_mov_b32_e32 v47, v21
	v_mov_b32_e32 v48, v22
	v_fmac_f32_e32 v47, 0xbf3504f3, v17
	v_fmac_f32_e32 v48, 0xbf3504f3, v18
	;; [unrolled: 1-line block ×4, first 2 shown]
	v_sub_f32_e32 v23, v11, v23
	v_sub_f32_e32 v24, v12, v24
	;; [unrolled: 1-line block ×4, first 2 shown]
	v_fma_f32 v17, v21, 2.0, -v47
	v_fma_f32 v18, v22, 2.0, -v48
	v_mov_b32_e32 v21, v26
	v_mov_b32_e32 v22, v25
	v_fma_f32 v15, v15, 2.0, -v27
	v_fma_f32 v16, v16, 2.0, -v28
	v_sub_f32_e32 v19, v3, v19
	v_sub_f32_e32 v20, v4, v20
	s_waitcnt lgkmcnt(0)
	v_sub_f32_e32 v29, v31, v29
	v_sub_f32_e32 v30, v32, v30
	;; [unrolled: 1-line block ×3, first 2 shown]
	v_add_f32_e32 v27, v27, v24
	v_fmac_f32_e32 v21, 0x3f3504f3, v8
	v_fmac_f32_e32 v22, 0x3f3504f3, v7
	v_fma_f32 v11, v11, 2.0, -v23
	v_fma_f32 v12, v12, 2.0, -v24
	;; [unrolled: 1-line block ×6, first 2 shown]
	v_sub_f32_e32 v30, v19, v30
	v_add_f32_e32 v29, v29, v20
	v_fmac_f32_e32 v21, 0xbf3504f3, v7
	v_fmac_f32_e32 v22, 0x3f3504f3, v8
	v_fma_f32 v3, v3, 2.0, -v19
	v_fma_f32 v4, v4, 2.0, -v20
	;; [unrolled: 1-line block ×6, first 2 shown]
	v_mov_b32_e32 v25, v23
	v_mov_b32_e32 v26, v24
	v_sub_f32_e32 v13, v9, v13
	v_sub_f32_e32 v14, v10, v14
	;; [unrolled: 1-line block ×4, first 2 shown]
	v_fmac_f32_e32 v25, 0xbf3504f3, v19
	v_fmac_f32_e32 v26, 0xbf3504f3, v20
	v_mov_b32_e32 v59, v28
	v_mov_b32_e32 v60, v27
	v_fma_f32 v1, v1, 2.0, -v5
	v_fma_f32 v2, v2, 2.0, -v6
	v_sub_f32_e32 v15, v11, v15
	v_sub_f32_e32 v16, v12, v16
	;; [unrolled: 1-line block ×5, first 2 shown]
	v_add_f32_e32 v5, v5, v14
	v_fmac_f32_e32 v25, 0xbf3504f3, v20
	v_fmac_f32_e32 v26, 0x3f3504f3, v19
	;; [unrolled: 1-line block ×4, first 2 shown]
	s_load_dwordx2 s[6:7], s[4:5], 0x8
	v_fma_f32 v9, v9, 2.0, -v13
	v_fma_f32 v10, v10, 2.0, -v14
	;; [unrolled: 1-line block ×10, first 2 shown]
	v_sub_f32_e32 v23, v15, v32
	v_add_f32_e32 v24, v31, v16
	v_fmac_f32_e32 v59, 0xbf3504f3, v29
	v_fmac_f32_e32 v60, 0x3f3504f3, v30
	v_sub_f32_e32 v1, v9, v1
	v_sub_f32_e32 v2, v10, v2
	;; [unrolled: 1-line block ×4, first 2 shown]
	v_fma_f32 v15, v15, 2.0, -v23
	v_fma_f32 v16, v16, 2.0, -v24
	;; [unrolled: 1-line block ×4, first 2 shown]
	v_mov_b32_e32 v35, v17
	v_mov_b32_e32 v36, v18
	;; [unrolled: 1-line block ×12, first 2 shown]
	v_fma_f32 v9, v9, 2.0, -v1
	v_fma_f32 v10, v10, 2.0, -v2
	;; [unrolled: 1-line block ×4, first 2 shown]
	v_fmac_f32_e32 v35, 0xbf6c835e, v19
	v_fmac_f32_e32 v36, 0xbf6c835e, v20
	;; [unrolled: 1-line block ×12, first 2 shown]
	v_sub_f32_e32 v33, v9, v11
	v_sub_f32_e32 v34, v10, v12
	v_fmac_f32_e32 v35, 0xbec3ef15, v20
	v_fmac_f32_e32 v36, 0x3ec3ef15, v19
	;; [unrolled: 1-line block ×6, first 2 shown]
	v_sub_f32_e32 v49, v1, v4
	v_add_f32_e32 v50, v3, v2
	v_fmac_f32_e32 v51, 0xbf6c835e, v26
	v_fmac_f32_e32 v52, 0x3f6c835e, v25
	;; [unrolled: 1-line block ×6, first 2 shown]
	v_fma_f32 v29, v9, 2.0, -v33
	v_fma_f32 v30, v10, 2.0, -v34
	v_fma_f32 v31, v17, 2.0, -v35
	v_fma_f32 v32, v18, 2.0, -v36
	v_fma_f32 v37, v13, 2.0, -v41
	v_fma_f32 v38, v14, 2.0, -v42
	v_fma_f32 v39, v7, 2.0, -v43
	v_fma_f32 v40, v8, 2.0, -v44
	v_fma_f32 v45, v1, 2.0, -v49
	v_fma_f32 v46, v2, 2.0, -v50
	v_fma_f32 v47, v47, 2.0, -v51
	v_fma_f32 v48, v48, 2.0, -v52
	v_fma_f32 v57, v6, 2.0, -v53
	v_fma_f32 v58, v5, 2.0, -v54
	v_fma_f32 v59, v21, 2.0, -v55
	v_fma_f32 v60, v22, 2.0, -v56
	v_lshlrev_b32_e32 v83, 7, v0
	s_waitcnt lgkmcnt(0)
	s_barrier
	s_and_saveexec_b64 s[0:1], vcc
	s_cbranch_execz .LBB0_7
; %bb.6:
	ds_write_b128 v83, v[29:32]
	ds_write_b128 v83, v[37:40] offset:16
	ds_write_b128 v83, v[45:48] offset:32
	ds_write_b128 v83, v[57:60] offset:48
	ds_write_b128 v83, v[33:36] offset:64
	ds_write_b128 v83, v[41:44] offset:80
	ds_write_b128 v83, v[49:52] offset:96
	ds_write_b128 v83, v[53:56] offset:112
.LBB0_7:
	s_or_b64 exec, exec, s[0:1]
	s_load_dwordx2 s[0:1], s[4:5], 0x20
	s_waitcnt lgkmcnt(0)
	s_barrier
	s_and_saveexec_b64 s[2:3], vcc
	s_cbranch_execz .LBB0_9
; %bb.8:
	ds_read2st64_b64 v[29:32], v78 offset1:2
	ds_read2st64_b64 v[37:40], v78 offset0:4 offset1:6
	ds_read2st64_b64 v[45:48], v78 offset0:8 offset1:10
	;; [unrolled: 1-line block ×3, first 2 shown]
	v_or_b32_e32 v5, 0x1c00, v78
	ds_read2st64_b64 v[33:36], v78 offset0:16 offset1:18
	ds_read2st64_b64 v[41:44], v78 offset0:20 offset1:22
	ds_read2st64_b64 v[49:52], v78 offset0:24 offset1:26
	v_or_b32_e32 v6, 0x3c00, v78
	ds_read_b64 v[59:60], v5
	ds_read_b64 v[55:56], v6
	s_waitcnt lgkmcnt(5)
	v_mov_b32_e32 v53, v3
	v_mov_b32_e32 v54, v4
	;; [unrolled: 1-line block ×4, first 2 shown]
.LBB0_9:
	s_or_b64 exec, exec, s[2:3]
	v_mov_b32_e32 v1, s6
	v_and_b32_e32 v79, 15, v0
	s_movk_i32 s2, 0x78
	v_mov_b32_e32 v2, s7
	v_mad_u64_u32 v[61:62], s[2:3], v79, s2, v[1:2]
	global_load_dwordx4 v[9:12], v[61:62], off
	global_load_dwordx4 v[5:8], v[61:62], off offset:16
	global_load_dwordx4 v[13:16], v[61:62], off offset:32
	;; [unrolled: 1-line block ×6, first 2 shown]
	global_load_dwordx2 v[74:75], v[61:62], off offset:112
	s_waitcnt vmcnt(0) lgkmcnt(0)
	s_barrier
	v_mul_f32_e32 v62, v37, v12
	v_mul_f32_e32 v63, v40, v6
	;; [unrolled: 1-line block ×18, first 2 shown]
	v_fmac_f32_e32 v62, v38, v11
	v_fma_f32 v38, v39, v5, -v63
	v_fma_f32 v39, v45, v7, -v65
	v_fmac_f32_e32 v66, v46, v7
	v_fma_f32 v33, v33, v3, -v76
	v_fmac_f32_e32 v77, v34, v3
	v_fma_f32 v34, v35, v17, -v80
	v_fma_f32 v35, v41, v19, -v82
	;; [unrolled: 1-line block ×3, first 2 shown]
	v_fmac_f32_e32 v88, v50, v23
	v_mul_f32_e32 v68, v47, v14
	v_mul_f32_e32 v69, v58, v16
	;; [unrolled: 1-line block ×7, first 2 shown]
	v_fma_f32 v37, v37, v11, -v61
	v_fmac_f32_e32 v64, v40, v5
	v_fma_f32 v40, v47, v13, -v67
	v_fmac_f32_e32 v70, v58, v15
	v_fmac_f32_e32 v92, v54, v27
	v_fma_f32 v47, v31, v9, -v95
	v_sub_f32_e32 v31, v29, v33
	v_sub_f32_e32 v33, v39, v41
	;; [unrolled: 1-line block ×3, first 2 shown]
	v_mul_f32_e32 v90, v51, v26
	v_mul_f32_e32 v94, v55, v75
	v_fma_f32 v45, v57, v15, -v69
	v_fmac_f32_e32 v81, v36, v17
	v_fmac_f32_e32 v84, v42, v19
	v_fma_f32 v36, v43, v21, -v85
	v_fmac_f32_e32 v86, v44, v21
	v_fma_f32 v43, v53, v27, -v91
	v_fma_f32 v44, v55, v74, -v93
	v_fmac_f32_e32 v96, v32, v9
	v_sub_f32_e32 v32, v30, v77
	v_sub_f32_e32 v35, v37, v35
	;; [unrolled: 1-line block ×4, first 2 shown]
	v_mul_f32_e32 v89, v52, v26
	v_fmac_f32_e32 v68, v48, v13
	v_fmac_f32_e32 v90, v52, v25
	;; [unrolled: 1-line block ×3, first 2 shown]
	v_sub_f32_e32 v48, v62, v84
	v_sub_f32_e32 v43, v45, v43
	v_fma_f32 v39, v39, 2.0, -v33
	v_fma_f32 v52, v66, 2.0, -v41
	v_add_f32_e32 v56, v32, v33
	v_fma_f32 v41, v31, 2.0, -v55
	v_sub_f32_e32 v33, v35, v49
	v_fma_f32 v50, v29, 2.0, -v31
	v_fma_f32 v45, v45, 2.0, -v43
	;; [unrolled: 1-line block ×3, first 2 shown]
	v_add_f32_e32 v43, v48, v43
	v_fma_f32 v31, v35, 2.0, -v33
	v_mov_b32_e32 v29, v41
	v_fma_f32 v42, v51, v25, -v89
	v_fma_f32 v51, v30, 2.0, -v32
	v_fma_f32 v32, v48, 2.0, -v43
	v_fmac_f32_e32 v29, 0xbf3504f3, v31
	v_mov_b32_e32 v30, v57
	v_fmac_f32_e32 v30, 0xbf3504f3, v32
	v_fmac_f32_e32 v29, 0xbf3504f3, v32
	v_mov_b32_e32 v32, v56
	v_fmac_f32_e32 v30, 0x3f3504f3, v31
	v_mov_b32_e32 v31, v55
	v_fmac_f32_e32 v32, 0x3f3504f3, v43
	v_mul_f32_e32 v71, v60, v2
	v_mul_f32_e32 v72, v59, v2
	v_fmac_f32_e32 v31, 0x3f3504f3, v33
	v_fmac_f32_e32 v32, 0x3f3504f3, v33
	v_sub_f32_e32 v33, v47, v34
	v_fma_f32 v46, v59, v1, -v71
	v_fmac_f32_e32 v72, v60, v1
	v_fma_f32 v37, v37, 2.0, -v35
	v_sub_f32_e32 v34, v96, v81
	v_fma_f32 v35, v47, 2.0, -v33
	v_sub_f32_e32 v42, v40, v42
	v_sub_f32_e32 v47, v68, v90
	v_fma_f32 v53, v62, 2.0, -v48
	v_fma_f32 v54, v70, 2.0, -v49
	v_sub_f32_e32 v36, v38, v36
	v_sub_f32_e32 v49, v64, v86
	;; [unrolled: 1-line block ×5, first 2 shown]
	v_add_f32_e32 v62, v34, v42
	v_fmac_f32_e32 v31, 0xbf3504f3, v43
	v_fma_f32 v43, v96, 2.0, -v34
	v_fma_f32 v40, v40, 2.0, -v42
	;; [unrolled: 1-line block ×6, first 2 shown]
	v_sub_f32_e32 v33, v36, v59
	v_add_f32_e32 v34, v49, v44
	v_mov_b32_e32 v64, v61
	v_mov_b32_e32 v65, v62
	v_fma_f32 v46, v46, 2.0, -v44
	v_fma_f32 v44, v49, 2.0, -v34
	v_mov_b32_e32 v63, v47
	v_fmac_f32_e32 v64, 0x3f3504f3, v33
	v_fmac_f32_e32 v65, 0x3f3504f3, v34
	v_sub_f32_e32 v39, v50, v39
	v_sub_f32_e32 v49, v51, v52
	v_fma_f32 v38, v38, 2.0, -v36
	v_fma_f32 v60, v72, 2.0, -v59
	;; [unrolled: 1-line block ×3, first 2 shown]
	v_mov_b32_e32 v59, v42
	v_fmac_f32_e32 v63, 0xbf3504f3, v44
	v_fmac_f32_e32 v64, 0xbf3504f3, v34
	;; [unrolled: 1-line block ×3, first 2 shown]
	v_fma_f32 v33, v50, 2.0, -v39
	v_fma_f32 v34, v51, 2.0, -v49
	v_sub_f32_e32 v50, v37, v45
	v_sub_f32_e32 v51, v53, v54
	v_fmac_f32_e32 v59, 0xbf3504f3, v36
	v_fmac_f32_e32 v63, 0x3f3504f3, v36
	v_fma_f32 v36, v37, 2.0, -v50
	v_fma_f32 v37, v53, 2.0, -v51
	v_sub_f32_e32 v52, v35, v40
	v_sub_f32_e32 v53, v38, v46
	;; [unrolled: 1-line block ×3, first 2 shown]
	v_fma_f32 v40, v35, 2.0, -v52
	v_sub_f32_e32 v54, v58, v60
	v_fma_f32 v38, v38, 2.0, -v53
	v_fmac_f32_e32 v59, 0xbf3504f3, v44
	v_fma_f32 v43, v43, 2.0, -v48
	v_fma_f32 v44, v58, 2.0, -v54
	v_sub_f32_e32 v35, v33, v36
	v_sub_f32_e32 v60, v40, v38
	;; [unrolled: 1-line block ×3, first 2 shown]
	v_fma_f32 v33, v33, 2.0, -v35
	v_sub_f32_e32 v66, v43, v44
	v_fma_f32 v37, v40, 2.0, -v60
	v_fma_f32 v34, v34, 2.0, -v36
	;; [unrolled: 1-line block ×3, first 2 shown]
	v_sub_f32_e32 v43, v33, v37
	v_fma_f32 v37, v41, 2.0, -v29
	v_sub_f32_e32 v44, v34, v38
	v_fma_f32 v38, v57, 2.0, -v30
	v_fma_f32 v40, v42, 2.0, -v59
	v_mov_b32_e32 v45, v37
	v_fma_f32 v41, v47, 2.0, -v63
	v_fmac_f32_e32 v45, 0xbf6c835e, v40
	v_mov_b32_e32 v46, v38
	v_fmac_f32_e32 v46, 0xbf6c835e, v41
	v_fmac_f32_e32 v45, 0xbec3ef15, v41
	v_sub_f32_e32 v41, v39, v51
	v_add_f32_e32 v42, v49, v50
	v_fmac_f32_e32 v46, 0x3ec3ef15, v40
	v_fma_f32 v39, v39, 2.0, -v41
	v_fma_f32 v40, v49, 2.0, -v42
	v_sub_f32_e32 v67, v52, v54
	v_add_f32_e32 v68, v48, v53
	v_fma_f32 v49, v52, 2.0, -v67
	v_fma_f32 v50, v48, 2.0, -v68
	v_mov_b32_e32 v47, v39
	v_mov_b32_e32 v48, v40
	v_fmac_f32_e32 v47, 0xbf3504f3, v49
	v_fmac_f32_e32 v48, 0xbf3504f3, v50
	v_fma_f32 v57, v55, 2.0, -v31
	v_fma_f32 v58, v56, 2.0, -v32
	v_fmac_f32_e32 v47, 0xbf3504f3, v50
	v_fmac_f32_e32 v48, 0x3f3504f3, v49
	v_fma_f32 v51, v61, 2.0, -v64
	v_fma_f32 v52, v62, 2.0, -v65
	v_mov_b32_e32 v49, v57
	v_mov_b32_e32 v50, v58
	;; [unrolled: 1-line block ×8, first 2 shown]
	v_fmac_f32_e32 v49, 0xbec3ef15, v51
	v_fmac_f32_e32 v50, 0xbec3ef15, v52
	v_fmac_f32_e32 v53, 0x3ec3ef15, v59
	v_fmac_f32_e32 v54, 0x3ec3ef15, v63
	v_fmac_f32_e32 v55, 0x3f3504f3, v67
	v_fmac_f32_e32 v56, 0x3f3504f3, v68
	v_fmac_f32_e32 v69, 0x3f6c835e, v64
	v_fmac_f32_e32 v70, 0x3f6c835e, v65
	v_fmac_f32_e32 v49, 0xbf6c835e, v52
	v_fmac_f32_e32 v50, 0x3f6c835e, v51
	v_sub_f32_e32 v51, v35, v66
	v_add_f32_e32 v52, v36, v60
	v_fmac_f32_e32 v53, 0xbf6c835e, v63
	v_fmac_f32_e32 v54, 0x3f6c835e, v59
	;; [unrolled: 1-line block ×6, first 2 shown]
	v_lshlrev_b32_e32 v87, 4, v0
	s_and_saveexec_b64 s[2:3], vcc
	s_cbranch_execz .LBB0_11
; %bb.10:
	s_movk_i32 s4, 0x700
	v_and_or_b32 v59, v87, s4, v79
	v_fma_f32 v38, v38, 2.0, -v46
	v_fma_f32 v37, v37, 2.0, -v45
	;; [unrolled: 1-line block ×4, first 2 shown]
	v_lshlrev_b32_e32 v59, 3, v59
	v_fma_f32 v32, v32, 2.0, -v70
	v_fma_f32 v31, v31, 2.0, -v69
	;; [unrolled: 1-line block ×12, first 2 shown]
	ds_write2_b64 v59, v[33:34], v[37:38] offset1:16
	ds_write2_b64 v59, v[39:40], v[57:58] offset0:32 offset1:48
	ds_write2_b64 v59, v[35:36], v[29:30] offset0:64 offset1:80
	;; [unrolled: 1-line block ×7, first 2 shown]
.LBB0_11:
	s_or_b64 exec, exec, s[2:3]
	v_mad_u64_u32 v[41:42], s[4:5], v0, 56, s[6:7]
	s_load_dwordx4 s[0:3], s[0:1], 0x0
	s_waitcnt lgkmcnt(0)
	s_barrier
	global_load_dwordx4 v[37:40], v[41:42], off offset:1920
	global_load_dwordx4 v[33:36], v[41:42], off offset:1936
	;; [unrolled: 1-line block ×3, first 2 shown]
	global_load_dwordx2 v[76:77], v[41:42], off offset:1968
	ds_read2st64_b64 v[57:60], v78 offset1:4
	ds_read2st64_b64 v[61:64], v78 offset0:8 offset1:12
	ds_read2st64_b64 v[65:68], v78 offset0:16 offset1:20
	;; [unrolled: 1-line block ×3, first 2 shown]
	v_or_b32_e32 v80, 0x200, v0
	v_or_b32_e32 v81, 0x300, v0
	;; [unrolled: 1-line block ×6, first 2 shown]
	s_waitcnt vmcnt(3) lgkmcnt(3)
	v_mul_f32_e32 v41, v60, v38
	v_mul_f32_e32 v42, v59, v38
	s_waitcnt lgkmcnt(2)
	v_mul_f32_e32 v71, v62, v40
	v_mul_f32_e32 v72, v61, v40
	s_waitcnt vmcnt(2)
	v_mul_f32_e32 v84, v64, v34
	v_mul_f32_e32 v85, v63, v34
	s_waitcnt lgkmcnt(1)
	v_mul_f32_e32 v86, v66, v36
	v_mul_f32_e32 v95, v65, v36
	s_waitcnt vmcnt(1)
	v_mul_f32_e32 v97, v67, v30
	s_waitcnt lgkmcnt(0)
	v_mul_f32_e32 v98, v89, v32
	v_mul_f32_e32 v99, v88, v32
	s_waitcnt vmcnt(0)
	v_mul_f32_e32 v101, v90, v77
	v_mul_f32_e32 v96, v68, v30
	;; [unrolled: 1-line block ×3, first 2 shown]
	v_fma_f32 v41, v59, v37, -v41
	v_fmac_f32_e32 v42, v60, v37
	v_fma_f32 v59, v61, v39, -v71
	v_fmac_f32_e32 v72, v62, v39
	;; [unrolled: 2-line block ×4, first 2 shown]
	v_fmac_f32_e32 v97, v68, v29
	v_fma_f32 v63, v88, v31, -v98
	v_fmac_f32_e32 v99, v89, v31
	v_fmac_f32_e32 v101, v91, v76
	v_fma_f32 v62, v67, v29, -v96
	v_fma_f32 v64, v90, v76, -v100
	v_sub_f32_e32 v61, v57, v61
	v_sub_f32_e32 v65, v58, v95
	;; [unrolled: 1-line block ×8, first 2 shown]
	v_fma_f32 v58, v58, 2.0, -v65
	v_fma_f32 v71, v72, 2.0, -v66
	;; [unrolled: 1-line block ×4, first 2 shown]
	v_sub_f32_e32 v84, v61, v66
	v_add_f32_e32 v85, v65, v63
	v_fma_f32 v57, v57, 2.0, -v61
	v_fma_f32 v59, v59, 2.0, -v63
	;; [unrolled: 1-line block ×4, first 2 shown]
	v_add_f32_e32 v86, v67, v64
	v_sub_f32_e32 v71, v58, v71
	v_fma_f32 v63, v61, 2.0, -v84
	v_fma_f32 v64, v65, 2.0, -v85
	v_sub_f32_e32 v61, v42, v72
	v_sub_f32_e32 v68, v62, v68
	;; [unrolled: 1-line block ×4, first 2 shown]
	v_fma_f32 v67, v67, 2.0, -v86
	v_fma_f32 v88, v58, 2.0, -v71
	;; [unrolled: 1-line block ×3, first 2 shown]
	v_mov_b32_e32 v60, v64
	v_fma_f32 v72, v62, 2.0, -v68
	v_fma_f32 v62, v57, 2.0, -v66
	;; [unrolled: 1-line block ×3, first 2 shown]
	v_mov_b32_e32 v59, v63
	v_sub_f32_e32 v41, v66, v61
	v_sub_f32_e32 v58, v88, v42
	v_fmac_f32_e32 v60, 0xbf3504f3, v67
	v_add_f32_e32 v42, v71, v65
	v_fmac_f32_e32 v59, 0xbf3504f3, v72
	v_fmac_f32_e32 v60, 0x3f3504f3, v72
	v_fma_f32 v65, v66, 2.0, -v41
	v_fma_f32 v66, v71, 2.0, -v42
	v_mov_b32_e32 v71, v84
	v_mov_b32_e32 v72, v85
	v_fmac_f32_e32 v71, 0x3f3504f3, v68
	v_fmac_f32_e32 v72, 0x3f3504f3, v86
	v_sub_f32_e32 v57, v62, v57
	v_fmac_f32_e32 v59, 0xbf3504f3, v67
	v_fmac_f32_e32 v71, 0xbf3504f3, v86
	;; [unrolled: 1-line block ×3, first 2 shown]
	v_fma_f32 v61, v62, 2.0, -v57
	v_fma_f32 v62, v88, 2.0, -v58
	;; [unrolled: 1-line block ×6, first 2 shown]
	v_lshlrev_b32_e32 v85, 3, v80
	v_lshlrev_b32_e32 v86, 3, v81
	;; [unrolled: 1-line block ×6, first 2 shown]
	ds_write2st64_b64 v78, v[61:62], v[63:64] offset1:4
	ds_write2st64_b64 v78, v[65:66], v[67:68] offset0:8 offset1:12
	ds_write2st64_b64 v78, v[57:58], v[59:60] offset0:16 offset1:20
	;; [unrolled: 1-line block ×3, first 2 shown]
	s_waitcnt lgkmcnt(0)
	s_barrier
	s_and_saveexec_b64 s[4:5], vcc
	s_cbranch_execz .LBB0_13
; %bb.12:
	s_add_u32 s6, s12, 0x4000
	s_addc_u32 s7, s13, 0
	global_load_dwordx2 v[92:93], v78, s[6:7]
	ds_read2st64_b64 v[88:91], v78 offset1:2
	s_waitcnt vmcnt(0) lgkmcnt(0)
	v_mul_f32_e32 v94, v89, v93
	v_mul_f32_e32 v95, v88, v93
	v_fma_f32 v94, v88, v92, -v94
	v_fmac_f32_e32 v95, v89, v92
	global_load_dwordx2 v[88:89], v78, s[6:7] offset:1024
	s_waitcnt vmcnt(0)
	v_mul_f32_e32 v92, v91, v89
	v_mul_f32_e32 v93, v90, v89
	v_fma_f32 v92, v90, v88, -v92
	v_fmac_f32_e32 v93, v91, v88
	ds_write2st64_b64 v78, v[94:95], v[92:93] offset1:2
	global_load_dwordx2 v[92:93], v78, s[6:7] offset:2048
	ds_read2st64_b64 v[88:91], v78 offset0:4 offset1:6
	s_waitcnt vmcnt(0) lgkmcnt(0)
	v_mul_f32_e32 v94, v89, v93
	v_mul_f32_e32 v95, v88, v93
	v_fma_f32 v94, v88, v92, -v94
	v_fmac_f32_e32 v95, v89, v92
	global_load_dwordx2 v[88:89], v78, s[6:7] offset:3072
	s_waitcnt vmcnt(0)
	v_mul_f32_e32 v92, v91, v89
	v_mul_f32_e32 v93, v90, v89
	v_fma_f32 v92, v90, v88, -v92
	v_fmac_f32_e32 v93, v91, v88
	ds_write2st64_b64 v78, v[94:95], v[92:93] offset0:4 offset1:6
	global_load_dwordx2 v[92:93], v85, s[6:7]
	ds_read2st64_b64 v[88:91], v78 offset0:8 offset1:10
	s_waitcnt vmcnt(0) lgkmcnt(0)
	v_mul_f32_e32 v94, v89, v93
	v_fma_f32 v94, v88, v92, -v94
	v_mul_f32_e32 v95, v88, v93
	v_or_b32_e32 v88, 0x1400, v78
	v_fmac_f32_e32 v95, v89, v92
	global_load_dwordx2 v[88:89], v88, s[6:7]
	s_waitcnt vmcnt(0)
	v_mul_f32_e32 v92, v91, v89
	v_mul_f32_e32 v93, v90, v89
	v_fma_f32 v92, v90, v88, -v92
	v_fmac_f32_e32 v93, v91, v88
	ds_write2st64_b64 v78, v[94:95], v[92:93] offset0:8 offset1:10
	global_load_dwordx2 v[92:93], v86, s[6:7]
	ds_read2st64_b64 v[88:91], v78 offset0:12 offset1:14
	s_waitcnt vmcnt(0) lgkmcnt(0)
	v_mul_f32_e32 v94, v89, v93
	v_fma_f32 v94, v88, v92, -v94
	v_mul_f32_e32 v95, v88, v93
	v_or_b32_e32 v88, 0x1c00, v78
	v_fmac_f32_e32 v95, v89, v92
	global_load_dwordx2 v[88:89], v88, s[6:7]
	;; [unrolled: 15-line block ×6, first 2 shown]
	s_waitcnt vmcnt(0)
	v_mul_f32_e32 v92, v91, v89
	v_mul_f32_e32 v93, v90, v89
	v_fma_f32 v92, v90, v88, -v92
	v_fmac_f32_e32 v93, v91, v88
	ds_write2st64_b64 v78, v[94:95], v[92:93] offset0:28 offset1:30
.LBB0_13:
	s_or_b64 exec, exec, s[4:5]
	s_waitcnt lgkmcnt(0)
	s_barrier
	s_and_saveexec_b64 s[4:5], vcc
	s_cbranch_execz .LBB0_15
; %bb.14:
	ds_read2st64_b64 v[61:64], v78 offset1:2
	ds_read2st64_b64 v[65:68], v78 offset0:4 offset1:6
	ds_read2st64_b64 v[57:60], v78 offset0:8 offset1:10
	;; [unrolled: 1-line block ×3, first 2 shown]
	v_or_b32_e32 v69, 0x1c00, v78
	ds_read2st64_b64 v[45:48], v78 offset0:18 offset1:20
	ds_read2st64_b64 v[49:52], v78 offset0:22 offset1:24
	;; [unrolled: 1-line block ×3, first 2 shown]
	v_or_b32_e32 v70, 0x3c00, v78
	ds_read_b64 v[71:72], v69
	ds_read_b64 v[69:70], v70
.LBB0_15:
	s_or_b64 exec, exec, s[4:5]
	s_waitcnt lgkmcnt(5)
	v_sub_f32_e32 v43, v61, v43
	v_sub_f32_e32 v44, v62, v44
	s_waitcnt lgkmcnt(3)
	v_sub_f32_e32 v51, v57, v51
	v_sub_f32_e32 v52, v58, v52
	v_fma_f32 v57, v57, 2.0, -v51
	v_fma_f32 v58, v58, 2.0, -v52
	v_sub_f32_e32 v47, v65, v47
	v_sub_f32_e32 v48, v66, v48
	s_waitcnt lgkmcnt(2)
	v_sub_f32_e32 v55, v41, v55
	v_sub_f32_e32 v56, v42, v56
	;; [unrolled: 1-line block ×8, first 2 shown]
	s_waitcnt lgkmcnt(0)
	v_sub_f32_e32 v69, v71, v69
	v_sub_f32_e32 v70, v72, v70
	v_add_f32_e32 v52, v52, v43
	v_sub_f32_e32 v51, v44, v51
	v_fma_f32 v61, v61, 2.0, -v43
	v_fma_f32 v62, v62, 2.0, -v44
	;; [unrolled: 1-line block ×16, first 2 shown]
	v_add_f32_e32 v56, v56, v47
	v_sub_f32_e32 v55, v48, v55
	v_add_f32_e32 v54, v54, v45
	v_sub_f32_e32 v53, v46, v53
	v_mov_b32_e32 v92, v52
	v_mov_b32_e32 v93, v51
	v_sub_f32_e32 v57, v61, v57
	v_sub_f32_e32 v58, v62, v58
	;; [unrolled: 1-line block ×4, first 2 shown]
	v_fma_f32 v47, v47, 2.0, -v56
	v_fma_f32 v48, v48, 2.0, -v55
	v_sub_f32_e32 v59, v63, v59
	v_sub_f32_e32 v60, v64, v60
	v_fma_f32 v46, v46, 2.0, -v53
	v_sub_f32_e32 v71, v67, v71
	v_sub_f32_e32 v72, v68, v72
	v_add_f32_e32 v70, v70, v49
	v_sub_f32_e32 v69, v50, v69
	v_mov_b32_e32 v88, v43
	v_mov_b32_e32 v89, v44
	v_fmac_f32_e32 v92, 0x3f3504f3, v56
	v_fmac_f32_e32 v93, 0x3f3504f3, v55
	v_mov_b32_e32 v95, v54
	v_mov_b32_e32 v96, v53
	v_fma_f32 v63, v63, 2.0, -v59
	v_fma_f32 v64, v64, 2.0, -v60
	;; [unrolled: 1-line block ×6, first 2 shown]
	v_fmac_f32_e32 v88, 0xbf3504f3, v47
	v_fmac_f32_e32 v89, 0xbf3504f3, v48
	v_add_f32_e32 v90, v42, v57
	v_sub_f32_e32 v91, v58, v41
	v_fmac_f32_e32 v92, 0x3f3504f3, v55
	v_fmac_f32_e32 v93, 0xbf3504f3, v56
	v_mov_b32_e32 v94, v46
	v_fmac_f32_e32 v95, 0x3f3504f3, v70
	v_fmac_f32_e32 v96, 0x3f3504f3, v69
	v_fma_f32 v61, v61, 2.0, -v57
	v_fma_f32 v62, v62, 2.0, -v58
	;; [unrolled: 1-line block ×3, first 2 shown]
	v_fmac_f32_e32 v88, 0x3f3504f3, v48
	v_fmac_f32_e32 v89, 0xbf3504f3, v47
	v_fma_f32 v47, v57, 2.0, -v90
	v_fma_f32 v48, v58, 2.0, -v91
	;; [unrolled: 1-line block ×4, first 2 shown]
	v_sub_f32_e32 v58, v63, v67
	v_sub_f32_e32 v67, v64, v68
	v_mov_b32_e32 v68, v45
	v_fmac_f32_e32 v94, 0xbf3504f3, v50
	v_add_f32_e32 v72, v72, v59
	v_fmac_f32_e32 v95, 0x3f3504f3, v69
	v_fmac_f32_e32 v96, 0xbf3504f3, v70
	v_fma_f32 v65, v65, 2.0, -v41
	v_fma_f32 v66, v66, 2.0, -v42
	;; [unrolled: 1-line block ×4, first 2 shown]
	v_fmac_f32_e32 v68, 0xbf3504f3, v49
	v_fmac_f32_e32 v94, 0xbf3504f3, v49
	v_fma_f32 v49, v59, 2.0, -v72
	v_fma_f32 v51, v54, 2.0, -v95
	;; [unrolled: 1-line block ×3, first 2 shown]
	v_mov_b32_e32 v63, v52
	v_mov_b32_e32 v64, v57
	v_sub_f32_e32 v65, v61, v65
	v_sub_f32_e32 v66, v62, v66
	v_fma_f32 v43, v43, 2.0, -v88
	v_fma_f32 v44, v44, 2.0, -v89
	v_fmac_f32_e32 v68, 0x3f3504f3, v50
	v_sub_f32_e32 v71, v60, v71
	v_fmac_f32_e32 v63, 0xbec3ef15, v51
	v_fmac_f32_e32 v64, 0xbec3ef15, v59
	v_fma_f32 v61, v61, 2.0, -v65
	v_fma_f32 v62, v62, 2.0, -v66
	;; [unrolled: 1-line block ×5, first 2 shown]
	v_mov_b32_e32 v55, v43
	v_mov_b32_e32 v56, v44
	v_fmac_f32_e32 v63, 0x3f6c835e, v59
	v_fmac_f32_e32 v64, 0xbf6c835e, v51
	v_mov_b32_e32 v60, v89
	v_sub_f32_e32 v53, v61, v41
	v_sub_f32_e32 v54, v62, v42
	v_fmac_f32_e32 v55, 0xbf6c835e, v45
	v_fmac_f32_e32 v56, 0xbf6c835e, v46
	v_fma_f32 v51, v52, 2.0, -v63
	v_fma_f32 v52, v57, 2.0, -v64
	v_add_f32_e32 v57, v67, v65
	v_sub_f32_e32 v58, v66, v58
	v_mov_b32_e32 v59, v88
	v_fmac_f32_e32 v60, 0x3ec3ef15, v94
	v_fma_f32 v41, v61, 2.0, -v53
	v_fma_f32 v42, v62, 2.0, -v54
	v_fmac_f32_e32 v55, 0x3ec3ef15, v46
	v_fmac_f32_e32 v56, 0xbec3ef15, v45
	v_mov_b32_e32 v61, v47
	v_mov_b32_e32 v62, v48
	v_fma_f32 v45, v65, 2.0, -v57
	v_fma_f32 v46, v66, 2.0, -v58
	v_fmac_f32_e32 v59, 0x3ec3ef15, v68
	v_fmac_f32_e32 v60, 0xbf6c835e, v68
	v_mov_b32_e32 v65, v90
	v_mov_b32_e32 v66, v91
	;; [unrolled: 1-line block ×4, first 2 shown]
	v_fmac_f32_e32 v61, 0xbf3504f3, v49
	v_fmac_f32_e32 v62, 0xbf3504f3, v50
	;; [unrolled: 1-line block ×13, first 2 shown]
	v_fma_f32 v43, v43, 2.0, -v55
	v_fma_f32 v44, v44, 2.0, -v56
	;; [unrolled: 1-line block ×10, first 2 shown]
	s_barrier
	s_and_saveexec_b64 s[4:5], vcc
	s_cbranch_execz .LBB0_17
; %bb.16:
	ds_write_b128 v83, v[41:44]
	ds_write_b128 v83, v[49:52] offset:16
	ds_write_b128 v83, v[45:48] offset:32
	;; [unrolled: 1-line block ×7, first 2 shown]
.LBB0_17:
	s_or_b64 exec, exec, s[4:5]
	s_waitcnt lgkmcnt(0)
	s_barrier
	s_and_saveexec_b64 s[4:5], vcc
	s_cbranch_execz .LBB0_19
; %bb.18:
	ds_read2st64_b64 v[41:44], v78 offset1:2
	ds_read2st64_b64 v[49:52], v78 offset0:4 offset1:6
	ds_read2st64_b64 v[45:48], v78 offset0:8 offset1:10
	;; [unrolled: 1-line block ×3, first 2 shown]
	v_or_b32_e32 v65, 0x1c00, v78
	ds_read2st64_b64 v[53:56], v78 offset0:18 offset1:20
	ds_read2st64_b64 v[57:60], v78 offset0:26 offset1:28
	;; [unrolled: 1-line block ×3, first 2 shown]
	v_or_b32_e32 v66, 0x3c00, v78
	ds_read_b64 v[71:72], v65
	ds_read_b64 v[67:68], v66
	s_waitcnt lgkmcnt(5)
	v_mov_b32_e32 v69, v88
	s_waitcnt lgkmcnt(3)
	v_mov_b32_e32 v65, v59
	v_mov_b32_e32 v66, v60
	v_mov_b32_e32 v59, v57
	v_mov_b32_e32 v60, v58
	s_waitcnt lgkmcnt(2)
	v_mov_b32_e32 v57, v63
	v_mov_b32_e32 v58, v64
	;; [unrolled: 1-line block ×11, first 2 shown]
.LBB0_19:
	s_or_b64 exec, exec, s[4:5]
	s_waitcnt lgkmcnt(0)
	s_barrier
	s_and_saveexec_b64 s[4:5], vcc
	s_cbranch_execz .LBB0_21
; %bb.20:
	v_mul_f32_e32 v89, v16, v70
	v_mul_f32_e32 v16, v16, v69
	v_fmac_f32_e32 v89, v15, v69
	v_mul_f32_e32 v90, v28, v66
	v_fma_f32 v15, v15, v70, -v16
	v_mul_f32_e32 v16, v28, v65
	v_mul_f32_e32 v28, v2, v72
	;; [unrolled: 1-line block ×5, first 2 shown]
	v_fmac_f32_e32 v28, v1, v71
	v_fma_f32 v71, v1, v72, -v2
	v_mul_f32_e32 v1, v75, v67
	v_fmac_f32_e32 v12, v11, v49
	v_mul_f32_e32 v49, v75, v68
	v_fma_f32 v1, v74, v68, -v1
	v_fma_f32 v83, v11, v50, -v83
	v_mul_f32_e32 v88, v20, v61
	v_mul_f32_e32 v11, v20, v62
	;; [unrolled: 1-line block ×3, first 2 shown]
	v_fmac_f32_e32 v49, v74, v67
	v_sub_f32_e32 v67, v71, v1
	v_mul_f32_e32 v6, v6, v52
	v_mul_f32_e32 v1, v22, v64
	v_fmac_f32_e32 v90, v27, v65
	v_fma_f32 v16, v27, v66, -v16
	v_mul_f32_e32 v27, v22, v63
	v_fmac_f32_e32 v6, v5, v51
	v_fmac_f32_e32 v1, v21, v63
	v_fma_f32 v27, v21, v64, -v27
	v_mul_f32_e32 v65, v14, v48
	v_sub_f32_e32 v21, v6, v1
	v_mul_f32_e32 v1, v14, v47
	v_fmac_f32_e32 v65, v13, v47
	v_fma_f32 v13, v13, v48, -v1
	v_mul_f32_e32 v1, v26, v59
	v_fma_f32 v1, v25, v60, -v1
	v_fmac_f32_e32 v11, v19, v61
	v_mul_f32_e32 v61, v10, v43
	v_sub_f32_e32 v14, v13, v1
	v_mul_f32_e32 v10, v10, v44
	v_mul_f32_e32 v1, v18, v56
	v_fma_f32 v88, v19, v62, -v88
	v_mul_f32_e32 v62, v18, v55
	v_fmac_f32_e32 v10, v9, v43
	v_fmac_f32_e32 v1, v17, v55
	v_mul_f32_e32 v93, v8, v46
	v_fma_f32 v62, v17, v56, -v62
	v_sub_f32_e32 v17, v10, v1
	v_mul_f32_e32 v1, v8, v45
	v_mul_f32_e32 v92, v4, v53
	v_fmac_f32_e32 v93, v7, v45
	v_fma_f32 v7, v7, v46, -v1
	v_mul_f32_e32 v1, v24, v57
	v_fma_f32 v92, v3, v54, -v92
	v_fma_f32 v1, v23, v58, -v1
	v_sub_f32_e32 v92, v42, v92
	v_sub_f32_e32 v8, v7, v1
	;; [unrolled: 1-line block ×4, first 2 shown]
	v_mul_f32_e32 v66, v26, v60
	v_fma_f32 v26, v42, 2.0, -v92
	v_fma_f32 v7, v7, 2.0, -v8
	v_fma_f32 v20, v5, v52, -v20
	v_sub_f32_e32 v49, v28, v49
	v_sub_f32_e32 v42, v26, v7
	v_fma_f32 v43, v12, 2.0, -v11
	v_fma_f32 v7, v89, 2.0, -v90
	v_mul_f32_e32 v94, v24, v58
	v_sub_f32_e32 v27, v20, v27
	v_fma_f32 v61, v9, v44, -v61
	v_fmac_f32_e32 v66, v25, v59
	v_add_f32_e32 v18, v14, v17
	v_sub_f32_e32 v44, v43, v7
	v_fma_f32 v7, v13, 2.0, -v14
	v_fma_f32 v14, v6, 2.0, -v21
	;; [unrolled: 1-line block ×3, first 2 shown]
	v_fmac_f32_e32 v94, v23, v57
	v_sub_f32_e32 v66, v65, v66
	v_mul_f32_e32 v1, v4, v54
	v_sub_f32_e32 v28, v14, v6
	v_fma_f32 v20, v20, 2.0, -v27
	v_fma_f32 v6, v71, 2.0, -v67
	v_sub_f32_e32 v88, v83, v88
	v_sub_f32_e32 v94, v93, v94
	;; [unrolled: 1-line block ×4, first 2 shown]
	v_fmac_f32_e32 v1, v3, v53
	v_sub_f32_e32 v49, v20, v6
	v_fma_f32 v51, v10, 2.0, -v17
	v_fma_f32 v6, v65, 2.0, -v66
	v_sub_f32_e32 v95, v92, v94
	v_sub_f32_e32 v62, v61, v62
	;; [unrolled: 1-line block ×4, first 2 shown]
	v_fma_f32 v54, v83, 2.0, -v88
	v_fma_f32 v6, v15, 2.0, -v16
	v_sub_f32_e32 v91, v88, v90
	v_mov_b32_e32 v96, v95
	v_add_f32_e32 v19, v16, v11
	v_sub_f32_e32 v69, v62, v66
	v_add_f32_e32 v22, v67, v21
	v_mov_b32_e32 v25, v18
	v_add_f32_e32 v23, v8, v3
	v_fma_f32 v46, v61, 2.0, -v62
	v_sub_f32_e32 v15, v54, v6
	v_fma_f32 v16, v41, 2.0, -v3
	v_fma_f32 v6, v93, 2.0, -v94
	v_fmac_f32_e32 v96, 0x3f3504f3, v91
	v_mov_b32_e32 v70, v69
	v_fmac_f32_e32 v25, 0x3f3504f3, v22
	v_mov_b32_e32 v24, v23
	v_sub_f32_e32 v47, v46, v7
	v_sub_f32_e32 v41, v16, v6
	v_fma_f32 v58, v62, 2.0, -v69
	v_fma_f32 v51, v51, 2.0, -v52
	;; [unrolled: 1-line block ×3, first 2 shown]
	v_fmac_f32_e32 v96, 0xbf3504f3, v19
	v_fmac_f32_e32 v70, 0x3f3504f3, v50
	;; [unrolled: 1-line block ×4, first 2 shown]
	v_sub_f32_e32 v48, v47, v28
	v_fma_f32 v13, v27, 2.0, -v50
	v_mov_b32_e32 v27, v58
	v_fma_f32 v50, v17, 2.0, -v18
	v_sub_f32_e32 v28, v51, v14
	v_fma_f32 v62, v16, 2.0, -v41
	v_fma_f32 v14, v43, 2.0, -v44
	v_fmac_f32_e32 v70, 0xbf3504f3, v22
	v_mov_b32_e32 v2, v96
	v_fmac_f32_e32 v24, 0x3f3504f3, v91
	v_fma_f32 v12, v11, 2.0, -v19
	v_fmac_f32_e32 v27, 0xbf3504f3, v13
	v_fma_f32 v19, v21, 2.0, -v22
	v_mov_b32_e32 v59, v50
	v_sub_f32_e32 v43, v62, v14
	v_fma_f32 v14, v20, 2.0, -v49
	v_fma_f32 v20, v95, 2.0, -v96
	v_fmac_f32_e32 v2, 0x3f6c835e, v70
	v_mov_b32_e32 v1, v24
	v_fmac_f32_e32 v27, 0xbf3504f3, v19
	v_fmac_f32_e32 v59, 0xbf3504f3, v19
	v_fma_f32 v22, v69, 2.0, -v70
	v_mov_b32_e32 v19, v20
	v_fmac_f32_e32 v2, 0xbec3ef15, v25
	v_fmac_f32_e32 v1, 0x3f6c835e, v25
	;; [unrolled: 1-line block ×3, first 2 shown]
	v_fma_f32 v25, v18, 2.0, -v25
	v_fmac_f32_e32 v19, 0xbf6c835e, v25
	v_fma_f32 v21, v20, 2.0, -v19
	v_fma_f32 v20, v23, 2.0, -v24
	v_mov_b32_e32 v18, v20
	v_sub_f32_e32 v45, v42, v44
	v_fmac_f32_e32 v18, 0xbec3ef15, v25
	v_fmac_f32_e32 v1, 0x3ec3ef15, v70
	;; [unrolled: 1-line block ×3, first 2 shown]
	v_fma_f32 v22, v42, 2.0, -v45
	v_fma_f32 v4, v24, 2.0, -v1
	v_add_f32_e32 v53, v49, v52
	v_fma_f32 v3, v3, 2.0, -v23
	v_fma_f32 v24, v47, 2.0, -v48
	v_mov_b32_e32 v23, v22
	v_add_f32_e32 v55, v15, v41
	v_fma_f32 v56, v92, 2.0, -v95
	v_mov_b32_e32 v60, v3
	v_fma_f32 v61, v26, 2.0, -v42
	v_fmac_f32_e32 v23, 0xbf3504f3, v24
	v_fma_f32 v26, v52, 2.0, -v53
	v_fma_f32 v10, v88, 2.0, -v91
	v_mov_b32_e32 v57, v56
	v_fmac_f32_e32 v60, 0xbf3504f3, v12
	v_fmac_f32_e32 v23, 0xbf3504f3, v26
	v_fma_f32 v41, v41, 2.0, -v55
	v_fmac_f32_e32 v57, 0xbf3504f3, v10
	v_fmac_f32_e32 v60, 0x3f3504f3, v10
	v_fma_f32 v25, v22, 2.0, -v23
	v_mov_b32_e32 v22, v41
	v_mov_b32_e32 v7, v45
	v_fmac_f32_e32 v57, 0xbf3504f3, v12
	v_fmac_f32_e32 v59, 0x3f3504f3, v13
	v_mov_b32_e32 v10, v60
	v_fmac_f32_e32 v22, 0xbf3504f3, v26
	v_fmac_f32_e32 v7, 0x3f3504f3, v48
	;; [unrolled: 3-line block ×3, first 2 shown]
	v_fma_f32 v26, v56, 2.0, -v57
	v_fmac_f32_e32 v7, 0xbf3504f3, v53
	v_fmac_f32_e32 v11, 0x3ec3ef15, v27
	;; [unrolled: 1-line block ×3, first 2 shown]
	v_fma_f32 v24, v41, 2.0, -v22
	v_fma_f32 v41, v58, 2.0, -v27
	v_mov_b32_e32 v27, v26
	v_fma_f32 v9, v45, 2.0, -v7
	v_fmac_f32_e32 v27, 0xbf6c835e, v41
	v_fma_f32 v45, v50, 2.0, -v59
	v_fmac_f32_e32 v27, 0xbec3ef15, v45
	v_fma_f32 v3, v3, 2.0, -v60
	v_fma_f32 v42, v26, 2.0, -v27
	v_mov_b32_e32 v26, v3
	v_fma_f32 v15, v54, 2.0, -v15
	v_fma_f32 v44, v46, 2.0, -v47
	v_fmac_f32_e32 v26, 0xbf6c835e, v45
	v_sub_f32_e32 v54, v61, v15
	v_sub_f32_e32 v46, v44, v14
	v_fmac_f32_e32 v26, 0x3ec3ef15, v41
	v_fma_f32 v41, v3, 2.0, -v26
	v_fma_f32 v3, v61, 2.0, -v54
	;; [unrolled: 1-line block ×3, first 2 shown]
	v_sub_f32_e32 v44, v3, v44
	v_sub_f32_e32 v15, v54, v28
	v_add_f32_e32 v14, v43, v46
	v_fma_f32 v46, v3, 2.0, -v44
	v_fma_f32 v3, v62, 2.0, -v43
	;; [unrolled: 1-line block ×3, first 2 shown]
	v_mov_b32_e32 v6, v55
	v_fma_f32 v16, v43, 2.0, -v14
	v_sub_f32_e32 v43, v3, v28
	s_movk_i32 s6, 0x700
	v_fmac_f32_e32 v6, 0x3f3504f3, v53
	v_fma_f32 v45, v3, 2.0, -v43
	v_and_or_b32 v3, v87, s6, v79
	v_fmac_f32_e32 v6, 0x3f3504f3, v48
	v_fmac_f32_e32 v11, 0xbf6c835e, v59
	v_lshlrev_b32_e32 v3, 3, v3
	v_fma_f32 v5, v96, 2.0, -v2
	v_fma_f32 v8, v55, 2.0, -v6
	;; [unrolled: 1-line block ×6, first 2 shown]
	ds_write2_b64 v3, v[45:46], v[41:42] offset1:16
	ds_write2_b64 v3, v[24:25], v[20:21] offset0:32 offset1:48
	ds_write2_b64 v3, v[16:17], v[12:13] offset0:64 offset1:80
	;; [unrolled: 1-line block ×7, first 2 shown]
.LBB0_21:
	s_or_b64 exec, exec, s[4:5]
	s_waitcnt lgkmcnt(0)
	s_barrier
	ds_read2st64_b64 v[1:4], v78 offset1:4
	ds_read2st64_b64 v[5:8], v78 offset0:8 offset1:12
	ds_read2st64_b64 v[9:12], v78 offset0:16 offset1:20
	;; [unrolled: 1-line block ×3, first 2 shown]
	s_waitcnt lgkmcnt(3)
	v_mul_f32_e32 v17, v38, v4
	v_fmac_f32_e32 v17, v37, v3
	v_mul_f32_e32 v3, v38, v3
	v_fma_f32 v3, v37, v4, -v3
	s_waitcnt lgkmcnt(2)
	v_mul_f32_e32 v4, v40, v6
	v_fmac_f32_e32 v4, v39, v5
	v_mul_f32_e32 v5, v40, v5
	v_fma_f32 v5, v39, v6, -v5
	v_mul_f32_e32 v6, v34, v8
	v_fmac_f32_e32 v6, v33, v7
	v_mul_f32_e32 v7, v34, v7
	v_fma_f32 v7, v33, v8, -v7
	s_waitcnt lgkmcnt(1)
	v_mul_f32_e32 v8, v36, v10
	v_fmac_f32_e32 v8, v35, v9
	v_mul_f32_e32 v9, v36, v9
	v_fma_f32 v9, v35, v10, -v9
	;; [unrolled: 9-line block ×3, first 2 shown]
	v_mul_f32_e32 v14, v77, v16
	v_fmac_f32_e32 v14, v76, v15
	v_mul_f32_e32 v15, v77, v15
	v_fma_f32 v15, v76, v16, -v15
	v_sub_f32_e32 v8, v1, v8
	v_sub_f32_e32 v9, v2, v9
	;; [unrolled: 1-line block ×8, first 2 shown]
	v_fma_f32 v1, v1, 2.0, -v8
	v_fma_f32 v2, v2, 2.0, -v9
	;; [unrolled: 1-line block ×8, first 2 shown]
	v_sub_f32_e32 v17, v1, v4
	v_sub_f32_e32 v18, v2, v5
	v_add_f32_e32 v19, v8, v13
	v_sub_f32_e32 v20, v9, v12
	v_sub_f32_e32 v12, v16, v6
	;; [unrolled: 1-line block ×3, first 2 shown]
	v_fma_f32 v4, v1, 2.0, -v17
	v_fma_f32 v5, v2, 2.0, -v18
	v_fma_f32 v1, v16, 2.0, -v12
	v_fma_f32 v2, v3, 2.0, -v13
	v_fma_f32 v8, v8, 2.0, -v19
	v_fma_f32 v9, v9, 2.0, -v20
	v_add_f32_e32 v15, v10, v15
	v_sub_f32_e32 v16, v11, v14
	v_sub_f32_e32 v1, v4, v1
	;; [unrolled: 1-line block ×3, first 2 shown]
	v_fma_f32 v7, v10, 2.0, -v15
	v_fma_f32 v10, v11, 2.0, -v16
	;; [unrolled: 1-line block ×4, first 2 shown]
	v_mov_b32_e32 v5, v8
	v_mov_b32_e32 v6, v9
	v_fmac_f32_e32 v5, 0xbf3504f3, v7
	v_fmac_f32_e32 v6, 0xbf3504f3, v10
	;; [unrolled: 1-line block ×4, first 2 shown]
	v_fma_f32 v7, v8, 2.0, -v5
	v_fma_f32 v8, v9, 2.0, -v6
	v_add_f32_e32 v9, v17, v13
	v_mov_b32_e32 v13, v19
	v_mov_b32_e32 v14, v20
	v_fmac_f32_e32 v13, 0x3f3504f3, v15
	v_fmac_f32_e32 v14, 0x3f3504f3, v16
	v_sub_f32_e32 v10, v18, v12
	v_fmac_f32_e32 v13, 0x3f3504f3, v16
	v_fmac_f32_e32 v14, 0xbf3504f3, v15
	v_fma_f32 v11, v17, 2.0, -v9
	v_fma_f32 v12, v18, 2.0, -v10
	;; [unrolled: 1-line block ×4, first 2 shown]
	ds_write2st64_b64 v78, v[3:4], v[7:8] offset1:4
	ds_write2st64_b64 v78, v[11:12], v[15:16] offset0:8 offset1:12
	ds_write2st64_b64 v78, v[1:2], v[5:6] offset0:16 offset1:20
	;; [unrolled: 1-line block ×3, first 2 shown]
	s_waitcnt lgkmcnt(0)
	s_barrier
	s_and_b64 exec, exec, vcc
	s_cbranch_execz .LBB0_23
; %bb.22:
	global_load_dwordx2 v[9:10], v78, s[12:13]
	global_load_dwordx2 v[11:12], v78, s[12:13] offset:1024
	global_load_dwordx2 v[13:14], v78, s[12:13] offset:2048
	;; [unrolled: 1-line block ×3, first 2 shown]
	ds_read2st64_b64 v[1:4], v78 offset1:2
	ds_read2st64_b64 v[5:8], v78 offset0:4 offset1:6
	global_load_dwordx2 v[21:22], v85, s[12:13]
	global_load_dwordx2 v[23:24], v86, s[12:13]
	v_or_b32_e32 v39, 0x280, v0
	v_or_b32_e32 v40, 0x380, v0
	v_lshlrev_b32_e32 v33, 3, v39
	v_lshlrev_b32_e32 v34, 3, v40
	global_load_dwordx2 v[29:30], v33, s[12:13]
	global_load_dwordx2 v[31:32], v34, s[12:13]
	v_mad_u64_u32 v[17:18], s[4:5], s2, v73, 0
	v_mad_u64_u32 v[19:20], s[4:5], s0, v0, 0
	v_or_b32_e32 v36, 0x80, v0
	v_mad_u64_u32 v[25:26], s[6:7], s0, v36, 0
	v_mad_u64_u32 v[33:34], s[2:3], s3, v73, v[18:19]
	v_mov_b32_e32 v18, v26
	v_mov_b32_e32 v37, s15
	v_or_b32_e32 v38, 0x180, v0
	v_mad_u64_u32 v[27:28], s[6:7], s0, v38, 0
	s_lshl_b64 s[4:5], s[0:1], 11
	v_mov_b32_e32 v41, s5
	s_waitcnt vmcnt(4) lgkmcnt(0)
	v_mul_f32_e32 v42, v8, v16
	v_fmac_f32_e32 v42, v7, v15
	s_waitcnt vmcnt(3)
	v_mad_u64_u32 v[34:35], s[2:3], s1, v0, v[20:21]
	v_mad_u64_u32 v[35:36], s[2:3], s1, v36, v[18:19]
	v_mov_b32_e32 v18, v33
	v_lshlrev_b64 v[17:18], 3, v[17:18]
	v_mov_b32_e32 v20, v34
	v_lshlrev_b64 v[19:20], 3, v[19:20]
	v_add_co_u32_e32 v33, vcc, s14, v17
	v_mov_b32_e32 v26, v35
	v_addc_co_u32_e32 v34, vcc, v37, v18, vcc
	v_lshlrev_b64 v[25:26], 3, v[25:26]
	v_add_co_u32_e32 v17, vcc, v33, v19
	v_addc_co_u32_e32 v18, vcc, v34, v20, vcc
	v_add_co_u32_e32 v19, vcc, v33, v25
	v_mul_f32_e32 v35, v2, v10
	v_mul_f32_e32 v10, v1, v10
	v_addc_co_u32_e32 v20, vcc, v34, v26, vcc
	v_mul_f32_e32 v36, v4, v12
	v_mul_f32_e32 v12, v3, v12
	;; [unrolled: 1-line block ×4, first 2 shown]
	v_fmac_f32_e32 v35, v1, v9
	v_fma_f32 v2, v9, v2, -v10
	v_add_co_u32_e32 v25, vcc, s4, v17
	v_fmac_f32_e32 v36, v3, v11
	v_fma_f32 v4, v11, v4, -v12
	v_fmac_f32_e32 v37, v5, v13
	v_fma_f32 v6, v13, v6, -v14
	v_mul_f32_e32 v1, 0x3a000000, v35
	v_mul_f32_e32 v2, 0x3a000000, v2
	v_addc_co_u32_e32 v26, vcc, v18, v41, vcc
	v_mul_f32_e32 v3, 0x3a000000, v36
	v_mul_f32_e32 v4, 0x3a000000, v4
	v_mul_f32_e32 v5, 0x3a000000, v37
	v_mul_f32_e32 v6, 0x3a000000, v6
	global_store_dwordx2 v[17:18], v[1:2], off
	global_store_dwordx2 v[19:20], v[3:4], off
	global_store_dwordx2 v[25:26], v[5:6], off
	s_waitcnt vmcnt(4)
	v_mad_u64_u32 v[1:2], s[2:3], s1, v38, v[28:29]
	global_load_dwordx2 v[5:6], v84, s[12:13]
	v_mul_f32_e32 v2, v7, v16
	v_fma_f32 v2, v15, v8, -v2
	v_mov_b32_e32 v28, v1
	v_mul_f32_e32 v10, 0x3a000000, v2
	v_lshlrev_b64 v[1:2], 3, v[27:28]
	v_mul_f32_e32 v9, 0x3a000000, v42
	v_add_co_u32_e32 v1, vcc, v33, v1
	v_addc_co_u32_e32 v2, vcc, v34, v2, vcc
	global_store_dwordx2 v[1:2], v[9:10], off
	ds_read2st64_b64 v[1:4], v78 offset0:8 offset1:10
	v_or_b32_e32 v27, 0x480, v0
	v_lshlrev_b32_e32 v7, 3, v27
	global_load_dwordx2 v[7:8], v7, s[12:13]
	v_or_b32_e32 v28, 0x680, v0
	s_waitcnt lgkmcnt(0)
	v_mul_f32_e32 v13, v2, v22
	v_fmac_f32_e32 v13, v1, v21
	v_mul_f32_e32 v1, v1, v22
	v_fma_f32 v1, v21, v2, -v1
	v_or_b32_e32 v35, 0x780, v0
	v_mul_f32_e32 v14, 0x3a000000, v1
	v_add_co_u32_e32 v15, vcc, s4, v25
	v_mad_u64_u32 v[1:2], s[2:3], s0, v39, 0
	v_or_b32_e32 v25, 0x580, v0
	v_lshlrev_b32_e32 v9, 3, v28
	global_load_dwordx2 v[9:10], v9, s[12:13]
	v_lshlrev_b32_e32 v11, 3, v35
	global_load_dwordx2 v[11:12], v11, s[12:13]
	v_mul_f32_e32 v13, 0x3a000000, v13
	v_addc_co_u32_e32 v16, vcc, v26, v41, vcc
	v_lshlrev_b32_e32 v0, 3, v25
	global_store_dwordx2 v[15:16], v[13:14], off
	global_load_dwordx2 v[13:14], v82, s[12:13]
	s_nop 0
	global_load_dwordx2 v[17:18], v0, s[12:13]
	v_mul_f32_e32 v0, v4, v30
	v_fmac_f32_e32 v0, v3, v29
	v_mul_f32_e32 v19, 0x3a000000, v0
	v_mov_b32_e32 v0, v2
	v_mad_u64_u32 v[21:22], s[2:3], s1, v39, v[0:1]
	v_mul_f32_e32 v0, v3, v30
	v_fma_f32 v0, v29, v4, -v0
	v_mov_b32_e32 v2, v21
	v_mul_f32_e32 v20, 0x3a000000, v0
	v_lshlrev_b64 v[21:22], 3, v[1:2]
	ds_read2st64_b64 v[0:3], v78 offset0:12 offset1:14
	v_add_co_u32_e32 v21, vcc, v33, v21
	v_addc_co_u32_e32 v22, vcc, v34, v22, vcc
	s_waitcnt lgkmcnt(0)
	v_mul_f32_e32 v4, v1, v24
	v_fmac_f32_e32 v4, v0, v23
	v_mul_f32_e32 v0, v0, v24
	v_fma_f32 v0, v23, v1, -v0
	v_add_co_u32_e32 v15, vcc, s4, v15
	global_store_dwordx2 v[21:22], v[19:20], off
	v_mul_f32_e32 v19, 0x3a000000, v4
	v_mul_f32_e32 v20, 0x3a000000, v0
	v_addc_co_u32_e32 v16, vcc, v16, v41, vcc
	global_store_dwordx2 v[15:16], v[19:20], off
	global_load_dwordx2 v[19:20], v81, s[12:13]
	v_mad_u64_u32 v[0:1], s[2:3], s0, v40, 0
	s_waitcnt vmcnt(14)
	v_mul_f32_e32 v4, v3, v32
	v_fmac_f32_e32 v4, v2, v31
	v_mad_u64_u32 v[23:24], s[2:3], s1, v40, v[1:2]
	v_mul_f32_e32 v1, v2, v32
	v_fma_f32 v1, v31, v3, -v1
	v_mul_f32_e32 v22, 0x3a000000, v1
	v_mov_b32_e32 v1, v23
	v_lshlrev_b64 v[23:24], 3, v[0:1]
	v_mul_f32_e32 v21, 0x3a000000, v4
	v_add_co_u32_e32 v23, vcc, v33, v23
	v_addc_co_u32_e32 v24, vcc, v34, v24, vcc
	global_store_dwordx2 v[23:24], v[21:22], off
	global_load_dwordx2 v[21:22], v80, s[12:13]
	ds_read2st64_b64 v[0:3], v78 offset0:16 offset1:18
	v_add_co_u32_e32 v15, vcc, s4, v15
	v_addc_co_u32_e32 v16, vcc, v16, v41, vcc
	s_waitcnt vmcnt(12) lgkmcnt(0)
	v_mul_f32_e32 v4, v1, v6
	v_fmac_f32_e32 v4, v0, v5
	v_mul_f32_e32 v0, v0, v6
	v_fma_f32 v0, v5, v1, -v0
	v_mul_f32_e32 v5, 0x3a000000, v0
	v_mad_u64_u32 v[0:1], s[2:3], s0, v27, 0
	v_mul_f32_e32 v4, 0x3a000000, v4
	global_store_dwordx2 v[15:16], v[4:5], off
	v_mad_u64_u32 v[23:24], s[2:3], s1, v27, v[1:2]
	s_waitcnt vmcnt(11)
	v_mul_f32_e32 v1, v2, v8
	v_fma_f32 v1, v7, v3, -v1
	v_mul_f32_e32 v4, v3, v8
	v_mul_f32_e32 v5, 0x3a000000, v1
	v_mov_b32_e32 v1, v23
	v_fmac_f32_e32 v4, v2, v7
	v_lshlrev_b64 v[6:7], 3, v[0:1]
	ds_read2st64_b64 v[0:3], v78 offset0:20 offset1:22
	v_add_co_u32_e32 v6, vcc, v33, v6
	v_mul_f32_e32 v4, 0x3a000000, v4
	v_addc_co_u32_e32 v7, vcc, v34, v7, vcc
	global_store_dwordx2 v[6:7], v[4:5], off
	s_waitcnt vmcnt(8) lgkmcnt(0)
	v_mul_f32_e32 v4, v1, v14
	v_fmac_f32_e32 v4, v0, v13
	v_mul_f32_e32 v0, v0, v14
	v_fma_f32 v0, v13, v1, -v0
	v_mul_f32_e32 v5, 0x3a000000, v0
	v_mad_u64_u32 v[0:1], s[2:3], s0, v25, 0
	v_add_co_u32_e32 v6, vcc, s4, v15
	v_mad_u64_u32 v[13:14], s[2:3], s1, v25, v[1:2]
	s_waitcnt vmcnt(7)
	v_mul_f32_e32 v1, v2, v18
	v_mul_f32_e32 v4, 0x3a000000, v4
	v_addc_co_u32_e32 v7, vcc, v16, v41, vcc
	v_fma_f32 v1, v17, v3, -v1
	global_store_dwordx2 v[6:7], v[4:5], off
	v_mul_f32_e32 v4, v3, v18
	v_mul_f32_e32 v5, 0x3a000000, v1
	v_mov_b32_e32 v1, v13
	v_fmac_f32_e32 v4, v2, v17
	v_lshlrev_b64 v[13:14], 3, v[0:1]
	ds_read2st64_b64 v[0:3], v78 offset0:24 offset1:26
	v_add_co_u32_e32 v13, vcc, v33, v13
	v_mul_f32_e32 v4, 0x3a000000, v4
	v_addc_co_u32_e32 v14, vcc, v34, v14, vcc
	global_store_dwordx2 v[13:14], v[4:5], off
	v_add_co_u32_e32 v6, vcc, s4, v6
	s_waitcnt vmcnt(6) lgkmcnt(0)
	v_mul_f32_e32 v4, v1, v20
	v_fmac_f32_e32 v4, v0, v19
	v_mul_f32_e32 v0, v0, v20
	v_fma_f32 v0, v19, v1, -v0
	v_mul_f32_e32 v5, 0x3a000000, v0
	v_mad_u64_u32 v[0:1], s[2:3], s0, v28, 0
	v_mul_f32_e32 v4, 0x3a000000, v4
	v_addc_co_u32_e32 v7, vcc, v7, v41, vcc
	v_mad_u64_u32 v[13:14], s[2:3], s1, v28, v[1:2]
	v_mul_f32_e32 v1, v2, v10
	v_fma_f32 v1, v9, v3, -v1
	global_store_dwordx2 v[6:7], v[4:5], off
	v_mul_f32_e32 v4, v3, v10
	v_mul_f32_e32 v5, 0x3a000000, v1
	v_mov_b32_e32 v1, v13
	v_fmac_f32_e32 v4, v2, v9
	v_lshlrev_b64 v[8:9], 3, v[0:1]
	ds_read2st64_b64 v[0:3], v78 offset0:28 offset1:30
	v_add_co_u32_e32 v8, vcc, v33, v8
	v_mul_f32_e32 v4, 0x3a000000, v4
	v_addc_co_u32_e32 v9, vcc, v34, v9, vcc
	global_store_dwordx2 v[8:9], v[4:5], off
	s_waitcnt vmcnt(6) lgkmcnt(0)
	v_mul_f32_e32 v4, v1, v22
	v_fmac_f32_e32 v4, v0, v21
	v_mul_f32_e32 v0, v0, v22
	v_fma_f32 v0, v21, v1, -v0
	v_mul_f32_e32 v5, 0x3a000000, v0
	v_add_co_u32_e32 v0, vcc, s4, v6
	v_mul_f32_e32 v4, 0x3a000000, v4
	v_addc_co_u32_e32 v1, vcc, v7, v41, vcc
	global_store_dwordx2 v[0:1], v[4:5], off
	v_mad_u64_u32 v[0:1], s[2:3], s0, v35, 0
	v_mul_f32_e32 v4, v3, v12
	v_fmac_f32_e32 v4, v2, v11
	v_mad_u64_u32 v[6:7], s[0:1], s1, v35, v[1:2]
	v_mul_f32_e32 v1, v2, v12
	v_fma_f32 v1, v11, v3, -v1
	v_mul_f32_e32 v5, 0x3a000000, v1
	v_mov_b32_e32 v1, v6
	v_lshlrev_b64 v[0:1], 3, v[0:1]
	v_mul_f32_e32 v4, 0x3a000000, v4
	v_add_co_u32_e32 v0, vcc, v33, v0
	v_addc_co_u32_e32 v1, vcc, v34, v1, vcc
	global_store_dwordx2 v[0:1], v[4:5], off
.LBB0_23:
	s_endpgm
	.section	.rodata,"a",@progbits
	.p2align	6, 0x0
	.amdhsa_kernel bluestein_single_back_len2048_dim1_sp_op_CI_CI
		.amdhsa_group_segment_fixed_size 16384
		.amdhsa_private_segment_fixed_size 0
		.amdhsa_kernarg_size 104
		.amdhsa_user_sgpr_count 6
		.amdhsa_user_sgpr_private_segment_buffer 1
		.amdhsa_user_sgpr_dispatch_ptr 0
		.amdhsa_user_sgpr_queue_ptr 0
		.amdhsa_user_sgpr_kernarg_segment_ptr 1
		.amdhsa_user_sgpr_dispatch_id 0
		.amdhsa_user_sgpr_flat_scratch_init 0
		.amdhsa_user_sgpr_private_segment_size 0
		.amdhsa_uses_dynamic_stack 0
		.amdhsa_system_sgpr_private_segment_wavefront_offset 0
		.amdhsa_system_sgpr_workgroup_id_x 1
		.amdhsa_system_sgpr_workgroup_id_y 0
		.amdhsa_system_sgpr_workgroup_id_z 0
		.amdhsa_system_sgpr_workgroup_info 0
		.amdhsa_system_vgpr_workitem_id 0
		.amdhsa_next_free_vgpr 102
		.amdhsa_next_free_sgpr 16
		.amdhsa_reserve_vcc 1
		.amdhsa_reserve_flat_scratch 0
		.amdhsa_float_round_mode_32 0
		.amdhsa_float_round_mode_16_64 0
		.amdhsa_float_denorm_mode_32 3
		.amdhsa_float_denorm_mode_16_64 3
		.amdhsa_dx10_clamp 1
		.amdhsa_ieee_mode 1
		.amdhsa_fp16_overflow 0
		.amdhsa_exception_fp_ieee_invalid_op 0
		.amdhsa_exception_fp_denorm_src 0
		.amdhsa_exception_fp_ieee_div_zero 0
		.amdhsa_exception_fp_ieee_overflow 0
		.amdhsa_exception_fp_ieee_underflow 0
		.amdhsa_exception_fp_ieee_inexact 0
		.amdhsa_exception_int_div_zero 0
	.end_amdhsa_kernel
	.text
.Lfunc_end0:
	.size	bluestein_single_back_len2048_dim1_sp_op_CI_CI, .Lfunc_end0-bluestein_single_back_len2048_dim1_sp_op_CI_CI
                                        ; -- End function
	.section	.AMDGPU.csdata,"",@progbits
; Kernel info:
; codeLenInByte = 11000
; NumSgprs: 20
; NumVgprs: 102
; ScratchSize: 0
; MemoryBound: 0
; FloatMode: 240
; IeeeMode: 1
; LDSByteSize: 16384 bytes/workgroup (compile time only)
; SGPRBlocks: 2
; VGPRBlocks: 25
; NumSGPRsForWavesPerEU: 20
; NumVGPRsForWavesPerEU: 102
; Occupancy: 2
; WaveLimiterHint : 1
; COMPUTE_PGM_RSRC2:SCRATCH_EN: 0
; COMPUTE_PGM_RSRC2:USER_SGPR: 6
; COMPUTE_PGM_RSRC2:TRAP_HANDLER: 0
; COMPUTE_PGM_RSRC2:TGID_X_EN: 1
; COMPUTE_PGM_RSRC2:TGID_Y_EN: 0
; COMPUTE_PGM_RSRC2:TGID_Z_EN: 0
; COMPUTE_PGM_RSRC2:TIDIG_COMP_CNT: 0
	.type	__hip_cuid_a04f84682823875,@object ; @__hip_cuid_a04f84682823875
	.section	.bss,"aw",@nobits
	.globl	__hip_cuid_a04f84682823875
__hip_cuid_a04f84682823875:
	.byte	0                               ; 0x0
	.size	__hip_cuid_a04f84682823875, 1

	.ident	"AMD clang version 19.0.0git (https://github.com/RadeonOpenCompute/llvm-project roc-6.4.0 25133 c7fe45cf4b819c5991fe208aaa96edf142730f1d)"
	.section	".note.GNU-stack","",@progbits
	.addrsig
	.addrsig_sym __hip_cuid_a04f84682823875
	.amdgpu_metadata
---
amdhsa.kernels:
  - .args:
      - .actual_access:  read_only
        .address_space:  global
        .offset:         0
        .size:           8
        .value_kind:     global_buffer
      - .actual_access:  read_only
        .address_space:  global
        .offset:         8
        .size:           8
        .value_kind:     global_buffer
      - .actual_access:  read_only
        .address_space:  global
        .offset:         16
        .size:           8
        .value_kind:     global_buffer
      - .actual_access:  read_only
        .address_space:  global
        .offset:         24
        .size:           8
        .value_kind:     global_buffer
      - .actual_access:  read_only
        .address_space:  global
        .offset:         32
        .size:           8
        .value_kind:     global_buffer
      - .offset:         40
        .size:           8
        .value_kind:     by_value
      - .address_space:  global
        .offset:         48
        .size:           8
        .value_kind:     global_buffer
      - .address_space:  global
        .offset:         56
        .size:           8
        .value_kind:     global_buffer
      - .address_space:  global
        .offset:         64
        .size:           8
        .value_kind:     global_buffer
      - .address_space:  global
        .offset:         72
        .size:           8
        .value_kind:     global_buffer
      - .offset:         80
        .size:           4
        .value_kind:     by_value
      - .address_space:  global
        .offset:         88
        .size:           8
        .value_kind:     global_buffer
      - .address_space:  global
        .offset:         96
        .size:           8
        .value_kind:     global_buffer
    .group_segment_fixed_size: 16384
    .kernarg_segment_align: 8
    .kernarg_segment_size: 104
    .language:       OpenCL C
    .language_version:
      - 2
      - 0
    .max_flat_workgroup_size: 256
    .name:           bluestein_single_back_len2048_dim1_sp_op_CI_CI
    .private_segment_fixed_size: 0
    .sgpr_count:     20
    .sgpr_spill_count: 0
    .symbol:         bluestein_single_back_len2048_dim1_sp_op_CI_CI.kd
    .uniform_work_group_size: 1
    .uses_dynamic_stack: false
    .vgpr_count:     102
    .vgpr_spill_count: 0
    .wavefront_size: 64
amdhsa.target:   amdgcn-amd-amdhsa--gfx906
amdhsa.version:
  - 1
  - 2
...

	.end_amdgpu_metadata
